;; amdgpu-corpus repo=ROCm/rocFFT kind=compiled arch=gfx1030 opt=O3
	.text
	.amdgcn_target "amdgcn-amd-amdhsa--gfx1030"
	.amdhsa_code_object_version 6
	.protected	bluestein_single_back_len343_dim1_dp_op_CI_CI ; -- Begin function bluestein_single_back_len343_dim1_dp_op_CI_CI
	.globl	bluestein_single_back_len343_dim1_dp_op_CI_CI
	.p2align	8
	.type	bluestein_single_back_len343_dim1_dp_op_CI_CI,@function
bluestein_single_back_len343_dim1_dp_op_CI_CI: ; @bluestein_single_back_len343_dim1_dp_op_CI_CI
; %bb.0:
	s_load_dwordx4 s[12:15], s[4:5], 0x28
	v_mul_u32_u24_e32 v1, 0x53a, v0
	s_mov_b32 s0, exec_lo
	v_lshrrev_b32_e32 v1, 16, v1
	v_mad_u64_u32 v[76:77], null, s6, 5, v[1:2]
	v_mov_b32_e32 v77, 0
	s_waitcnt lgkmcnt(0)
	v_cmpx_gt_u64_e64 s[12:13], v[76:77]
	s_cbranch_execz .LBB0_2
; %bb.1:
	s_clause 0x1
	s_load_dwordx4 s[0:3], s[4:5], 0x18
	s_load_dwordx4 s[8:11], s[4:5], 0x0
	v_mul_lo_u16 v1, v1, 49
	v_mul_hi_u32 v57, 0xcccccccd, v76
	s_mov_b32 s12, 0x429ad128
	s_mov_b32 s13, 0xbfebfeb5
	;; [unrolled: 1-line block ×3, first 2 shown]
	v_sub_nc_u16 v28, v0, v1
	s_mov_b32 s23, 0x3fd5d0dc
	s_mov_b32 s25, 0x3febfeb5
	;; [unrolled: 1-line block ×3, first 2 shown]
	v_lshrrev_b32_e32 v80, 2, v57
	v_and_b32_e32 v79, 0xffff, v28
	s_mov_b32 s21, 0xbfe77f67
	s_mov_b32 s27, 0xbfd5d0dc
	;; [unrolled: 1-line block ×3, first 2 shown]
	v_lshl_add_u32 v80, v80, 2, v80
	v_lshlrev_b32_e32 v75, 4, v79
	s_mov_b32 s29, 0x3fdc38aa
	s_mov_b32 s28, 0x37c3f68c
	s_waitcnt lgkmcnt(0)
	s_load_dwordx4 s[16:19], s[0:1], 0x0
	v_sub_nc_u32_e32 v80, v76, v80
	v_add_co_u32 v81, s0, s8, v75
	v_add_co_ci_u32_e64 v82, null, s9, 0, s0
	v_add_co_u32 v20, vcc_lo, 0x800, v81
	v_add_co_ci_u32_e32 v21, vcc_lo, 0, v82, vcc_lo
	s_waitcnt lgkmcnt(0)
	v_mad_u64_u32 v[12:13], null, s18, v76, 0
	v_mad_u64_u32 v[14:15], null, s16, v79, 0
	s_mul_i32 s0, s17, 0x310
	s_mul_hi_u32 s1, s16, 0x310
	s_mul_i32 s6, s16, 0x310
	s_add_i32 s1, s1, s0
	v_mov_b32_e32 v0, v13
	v_mov_b32_e32 v1, v15
	v_mad_u64_u32 v[2:3], null, s19, v76, v[0:1]
	s_mov_b32 s18, 0x5476071b
	s_mov_b32 s19, 0x3fe77f67
	;; [unrolled: 1-line block ×3, first 2 shown]
	v_mov_b32_e32 v13, v2
	v_mad_u64_u32 v[15:16], null, s17, v79, v[1:2]
	s_clause 0x2
	global_load_dwordx4 v[0:3], v75, s[8:9]
	global_load_dwordx4 v[4:7], v75, s[8:9] offset:784
	global_load_dwordx4 v[8:11], v75, s[8:9] offset:1568
	s_mov_b32 s8, 0x37e14327
	v_lshlrev_b64 v[12:13], 4, v[12:13]
	s_mov_b32 s9, 0x3fe948f6
	s_mov_b32 s16, 0xaaaaaaaa
	;; [unrolled: 1-line block ×3, first 2 shown]
	v_lshlrev_b64 v[14:15], 4, v[14:15]
	v_add_co_u32 v12, vcc_lo, s14, v12
	v_add_co_ci_u32_e32 v13, vcc_lo, s15, v13, vcc_lo
	s_mov_b32 s15, 0xbfe11646
	v_add_co_u32 v22, vcc_lo, v12, v14
	v_add_co_ci_u32_e32 v23, vcc_lo, v13, v15, vcc_lo
	s_clause 0x1
	global_load_dwordx4 v[12:15], v[20:21], off offset:304
	global_load_dwordx4 v[16:19], v[20:21], off offset:1088
	v_add_co_u32 v24, vcc_lo, v22, s6
	v_add_co_ci_u32_e32 v25, vcc_lo, s1, v23, vcc_lo
	v_add_co_u32 v77, vcc_lo, 0x1000, v81
	v_add_co_ci_u32_e32 v78, vcc_lo, 0, v82, vcc_lo
	;; [unrolled: 2-line block ×3, first 2 shown]
	global_load_dwordx4 v[29:32], v[22:23], off
	v_add_co_u32 v41, vcc_lo, v26, s6
	v_add_co_ci_u32_e32 v42, vcc_lo, s1, v27, vcc_lo
	s_clause 0x1
	global_load_dwordx4 v[33:36], v[24:25], off
	global_load_dwordx4 v[37:40], v[26:27], off
	v_add_co_u32 v22, vcc_lo, v41, s6
	v_add_co_ci_u32_e32 v23, vcc_lo, s1, v42, vcc_lo
	global_load_dwordx4 v[41:44], v[41:42], off
	v_add_co_u32 v24, vcc_lo, v22, s6
	v_add_co_ci_u32_e32 v25, vcc_lo, s1, v23, vcc_lo
	s_mov_b32 s14, 0xe976ee23
	v_add_co_u32 v53, vcc_lo, v24, s6
	v_add_co_ci_u32_e32 v54, vcc_lo, s1, v25, vcc_lo
	global_load_dwordx4 v[45:48], v[22:23], off
	global_load_dwordx4 v[20:23], v[20:21], off offset:1872
	global_load_dwordx4 v[49:52], v[24:25], off
	global_load_dwordx4 v[24:27], v[77:78], off offset:608
	global_load_dwordx4 v[53:56], v[53:54], off
	s_load_dwordx4 s[0:3], s[2:3], 0x0
	s_mov_b32 s6, 0x36b3c0b5
	s_mov_b32 s7, 0x3fac98ee
	s_waitcnt vmcnt(8)
	v_mul_f64 v[57:58], v[31:32], v[2:3]
	v_mul_f64 v[59:60], v[29:30], v[2:3]
	s_waitcnt vmcnt(7)
	v_mul_f64 v[61:62], v[35:36], v[6:7]
	v_mul_f64 v[63:64], v[33:34], v[6:7]
	;; [unrolled: 3-line block ×7, first 2 shown]
	v_fma_f64 v[29:30], v[29:30], v[0:1], v[57:58]
	v_fma_f64 v[31:32], v[31:32], v[0:1], -v[59:60]
	v_fma_f64 v[33:34], v[33:34], v[4:5], v[61:62]
	v_fma_f64 v[35:36], v[35:36], v[4:5], -v[63:64]
	;; [unrolled: 2-line block ×7, first 2 shown]
	v_mul_u32_u24_e32 v49, 0x157, v80
	v_and_b32_e32 v51, 0xff, v28
	v_lshlrev_b32_e32 v52, 4, v49
	v_mul_lo_u16 v51, v51, 37
	v_add_nc_u32_e32 v80, v75, v52
	ds_write_b128 v80, v[29:32]
	ds_write_b128 v80, v[33:36] offset:784
	ds_write_b128 v80, v[37:40] offset:1568
	;; [unrolled: 1-line block ×6, first 2 shown]
	s_waitcnt lgkmcnt(0)
	s_barrier
	buffer_gl0_inv
	ds_read_b128 v[29:32], v80 offset:784
	ds_read_b128 v[33:36], v80 offset:4704
	;; [unrolled: 1-line block ×6, first 2 shown]
	ds_read_b128 v[57:60], v80
	v_lshrrev_b16 v51, 8, v51
	s_waitcnt lgkmcnt(0)
	s_barrier
	buffer_gl0_inv
	v_add_f64 v[49:50], v[29:30], v[33:34]
	v_add_f64 v[61:62], v[31:32], v[35:36]
	;; [unrolled: 1-line block ×4, first 2 shown]
	v_add_f64 v[37:38], v[37:38], -v[41:42]
	v_add_f64 v[39:40], v[39:40], -v[43:44]
	v_add_f64 v[41:42], v[53:54], v[45:46]
	v_add_f64 v[43:44], v[55:56], v[47:48]
	v_add_f64 v[45:46], v[45:46], -v[53:54]
	v_add_f64 v[47:48], v[47:48], -v[55:56]
	;; [unrolled: 1-line block ×4, first 2 shown]
	v_add_f64 v[29:30], v[63:64], v[49:50]
	v_add_f64 v[31:32], v[65:66], v[61:62]
	v_add_f64 v[53:54], v[49:50], -v[41:42]
	v_add_f64 v[55:56], v[61:62], -v[43:44]
	;; [unrolled: 1-line block ×6, first 2 shown]
	v_add_f64 v[37:38], v[45:46], v[37:38]
	v_add_f64 v[39:40], v[47:48], v[39:40]
	v_add_f64 v[45:46], v[33:34], -v[45:46]
	v_add_f64 v[47:48], v[35:36], -v[47:48]
	;; [unrolled: 1-line block ×3, first 2 shown]
	v_add_f64 v[83:84], v[41:42], v[29:30]
	v_add_f64 v[85:86], v[43:44], v[31:32]
	v_add_f64 v[41:42], v[41:42], -v[63:64]
	v_add_f64 v[43:44], v[43:44], -v[65:66]
	v_mul_f64 v[53:54], v[53:54], s[8:9]
	v_mul_f64 v[55:56], v[55:56], s[8:9]
	;; [unrolled: 1-line block ×6, first 2 shown]
	v_add_f64 v[33:34], v[37:38], v[33:34]
	v_add_f64 v[35:36], v[39:40], v[35:36]
	;; [unrolled: 1-line block ×4, first 2 shown]
	v_add_f64 v[57:58], v[65:66], -v[61:62]
	v_mul_f64 v[59:60], v[41:42], s[6:7]
	v_mul_f64 v[61:62], v[43:44], s[6:7]
	v_fma_f64 v[37:38], v[41:42], s[6:7], v[53:54]
	v_fma_f64 v[39:40], v[43:44], s[6:7], v[55:56]
	;; [unrolled: 1-line block ×4, first 2 shown]
	v_fma_f64 v[63:64], v[71:72], s[24:25], -v[67:68]
	v_fma_f64 v[65:66], v[73:74], s[24:25], -v[69:70]
	v_fma_f64 v[45:46], v[45:46], s[26:27], v[87:88]
	v_fma_f64 v[47:48], v[47:48], s[26:27], v[89:90]
	v_fma_f64 v[53:54], v[49:50], s[20:21], -v[53:54]
	v_fma_f64 v[67:68], v[83:84], s[16:17], v[29:30]
	v_fma_f64 v[69:70], v[85:86], s[16:17], v[31:32]
	v_fma_f64 v[55:56], v[57:58], s[20:21], -v[55:56]
	v_fma_f64 v[49:50], v[49:50], s[18:19], -v[59:60]
	;; [unrolled: 1-line block ×3, first 2 shown]
	v_sub_nc_u16 v59, v28, v51
	v_fma_f64 v[61:62], v[35:36], s[28:29], v[43:44]
	v_fma_f64 v[63:64], v[33:34], s[28:29], v[63:64]
	v_lshrrev_b16 v75, 1, v59
	v_fma_f64 v[59:60], v[33:34], s[28:29], v[41:42]
	v_fma_f64 v[71:72], v[33:34], s[28:29], v[45:46]
	;; [unrolled: 1-line block ×4, first 2 shown]
	v_and_b32_e32 v33, 0x7f, v75
	v_add_nc_u16 v33, v33, v51
	v_mul_lo_u16 v51, v28, 7
	v_add_f64 v[83:84], v[37:38], v[67:68]
	v_add_f64 v[85:86], v[39:40], v[69:70]
	;; [unrolled: 1-line block ×6, first 2 shown]
	v_lshrrev_b16 v75, 2, v33
	v_mov_b32_e32 v49, 6
	v_mul_lo_u16 v50, v75, 7
	v_add_f64 v[33:34], v[83:84], v[61:62]
	v_add_f64 v[35:36], v[85:86], -v[59:60]
	v_add_f64 v[37:38], v[53:54], v[73:74]
	v_add_f64 v[39:40], v[55:56], -v[71:72]
	v_add_f64 v[41:42], v[45:46], -v[65:66]
	v_add_f64 v[43:44], v[63:64], v[47:48]
	v_add_f64 v[45:46], v[45:46], v[65:66]
	v_add_f64 v[47:48], v[47:48], -v[63:64]
	v_add_f64 v[53:54], v[53:54], -v[73:74]
	v_add_f64 v[55:56], v[71:72], v[55:56]
	v_add_f64 v[57:58], v[83:84], -v[61:62]
	v_add_f64 v[59:60], v[59:60], v[85:86]
	v_sub_nc_u16 v83, v28, v50
	v_and_b32_e32 v28, 0xffff, v51
	v_mul_u32_u24_sdwa v49, v83, v49 dst_sel:DWORD dst_unused:UNUSED_PAD src0_sel:BYTE_0 src1_sel:DWORD
	v_lshl_add_u32 v84, v28, 4, v52
	ds_write_b128 v84, v[29:32]
	ds_write_b128 v84, v[33:36] offset:16
	ds_write_b128 v84, v[37:40] offset:32
	;; [unrolled: 1-line block ×6, first 2 shown]
	v_lshlrev_b32_e32 v61, 4, v49
	s_waitcnt lgkmcnt(0)
	s_barrier
	buffer_gl0_inv
	s_clause 0x5
	global_load_dwordx4 v[32:35], v61, s[10:11]
	global_load_dwordx4 v[28:31], v61, s[10:11] offset:16
	global_load_dwordx4 v[36:39], v61, s[10:11] offset:80
	;; [unrolled: 1-line block ×5, first 2 shown]
	ds_read_b128 v[53:56], v80 offset:784
	ds_read_b128 v[57:60], v80 offset:1568
	ds_read_b128 v[61:64], v80 offset:4704
	ds_read_b128 v[65:68], v80 offset:3920
	ds_read_b128 v[69:72], v80 offset:2352
	ds_read_b128 v[85:88], v80 offset:3136
	ds_read_b128 v[89:92], v80
	s_waitcnt vmcnt(0) lgkmcnt(0)
	s_barrier
	buffer_gl0_inv
	v_mul_f64 v[73:74], v[55:56], v[34:35]
	v_mul_f64 v[93:94], v[53:54], v[34:35]
	;; [unrolled: 1-line block ×12, first 2 shown]
	v_fma_f64 v[53:54], v[53:54], v[32:33], -v[73:74]
	v_fma_f64 v[55:56], v[55:56], v[32:33], v[93:94]
	v_fma_f64 v[57:58], v[57:58], v[28:29], -v[95:96]
	v_fma_f64 v[59:60], v[59:60], v[28:29], v[97:98]
	;; [unrolled: 2-line block ×6, first 2 shown]
	v_add_f64 v[87:88], v[53:54], v[61:62]
	v_add_f64 v[93:94], v[55:56], v[63:64]
	;; [unrolled: 1-line block ×4, first 2 shown]
	v_add_f64 v[57:58], v[57:58], -v[65:66]
	v_add_f64 v[59:60], v[59:60], -v[67:68]
	v_add_f64 v[65:66], v[69:70], v[73:74]
	v_add_f64 v[67:68], v[71:72], v[85:86]
	v_add_f64 v[69:70], v[73:74], -v[69:70]
	v_add_f64 v[71:72], v[85:86], -v[71:72]
	;; [unrolled: 1-line block ×4, first 2 shown]
	v_add_f64 v[53:54], v[95:96], v[87:88]
	v_add_f64 v[55:56], v[97:98], v[93:94]
	v_add_f64 v[73:74], v[87:88], -v[65:66]
	v_add_f64 v[85:86], v[93:94], -v[67:68]
	;; [unrolled: 1-line block ×6, first 2 shown]
	v_add_f64 v[57:58], v[69:70], v[57:58]
	v_add_f64 v[59:60], v[71:72], v[59:60]
	v_add_f64 v[69:70], v[61:62], -v[69:70]
	v_add_f64 v[71:72], v[63:64], -v[71:72]
	;; [unrolled: 1-line block ×3, first 2 shown]
	v_add_f64 v[107:108], v[65:66], v[53:54]
	v_add_f64 v[109:110], v[67:68], v[55:56]
	v_add_f64 v[65:66], v[65:66], -v[95:96]
	v_add_f64 v[67:68], v[67:68], -v[97:98]
	v_mul_f64 v[73:74], v[73:74], s[8:9]
	v_mul_f64 v[85:86], v[85:86], s[8:9]
	;; [unrolled: 1-line block ×6, first 2 shown]
	v_add_f64 v[57:58], v[57:58], v[61:62]
	v_add_f64 v[59:60], v[59:60], v[63:64]
	;; [unrolled: 1-line block ×4, first 2 shown]
	v_add_f64 v[89:90], v[97:98], -v[93:94]
	v_mul_f64 v[91:92], v[65:66], s[6:7]
	v_mul_f64 v[93:94], v[67:68], s[6:7]
	v_fma_f64 v[61:62], v[65:66], s[6:7], v[73:74]
	v_fma_f64 v[63:64], v[67:68], s[6:7], v[85:86]
	;; [unrolled: 1-line block ×4, first 2 shown]
	v_fma_f64 v[95:96], v[103:104], s[24:25], -v[99:100]
	v_fma_f64 v[97:98], v[105:106], s[24:25], -v[101:102]
	v_fma_f64 v[69:70], v[69:70], s[26:27], v[111:112]
	v_fma_f64 v[71:72], v[71:72], s[26:27], v[113:114]
	v_fma_f64 v[73:74], v[87:88], s[20:21], -v[73:74]
	v_fma_f64 v[99:100], v[107:108], s[16:17], v[53:54]
	v_fma_f64 v[101:102], v[109:110], s[16:17], v[55:56]
	v_fma_f64 v[85:86], v[89:90], s[20:21], -v[85:86]
	v_fma_f64 v[87:88], v[87:88], s[18:19], -v[91:92]
	;; [unrolled: 1-line block ×3, first 2 shown]
	v_fma_f64 v[91:92], v[57:58], s[28:29], v[65:66]
	v_fma_f64 v[93:94], v[59:60], s[28:29], v[67:68]
	;; [unrolled: 1-line block ×6, first 2 shown]
	v_mov_b32_e32 v57, 49
	v_mul_u32_u24_sdwa v75, v75, v57 dst_sel:DWORD dst_unused:UNUSED_PAD src0_sel:WORD_0 src1_sel:DWORD
	v_add_f64 v[107:108], v[61:62], v[99:100]
	v_add_f64 v[109:110], v[63:64], v[101:102]
	;; [unrolled: 1-line block ×7, first 2 shown]
	v_add_f64 v[59:60], v[109:110], -v[91:92]
	v_add_f64 v[61:62], v[105:106], v[73:74]
	v_add_f64 v[63:64], v[111:112], -v[103:104]
	v_add_f64 v[65:66], v[69:70], -v[97:98]
	v_add_f64 v[67:68], v[95:96], v[71:72]
	v_add_f64 v[69:70], v[97:98], v[69:70]
	v_add_f64 v[71:72], v[71:72], -v[95:96]
	v_add_f64 v[85:86], v[73:74], -v[105:106]
	v_add_f64 v[87:88], v[103:104], v[111:112]
	v_add_f64 v[89:90], v[107:108], -v[93:94]
	v_add_f64 v[91:92], v[91:92], v[109:110]
	v_add_nc_u32_sdwa v73, v75, v83 dst_sel:DWORD dst_unused:UNUSED_PAD src0_sel:DWORD src1_sel:BYTE_0
	v_mad_u64_u32 v[93:94], null, 0x60, v79, s[10:11]
	v_lshl_add_u32 v83, v73, 4, v52
	ds_write_b128 v83, v[53:56]
	ds_write_b128 v83, v[57:60] offset:112
	ds_write_b128 v83, v[61:64] offset:224
	ds_write_b128 v83, v[65:68] offset:336
	ds_write_b128 v83, v[69:72] offset:448
	ds_write_b128 v83, v[85:88] offset:560
	ds_write_b128 v83, v[89:92] offset:672
	s_waitcnt lgkmcnt(0)
	s_barrier
	buffer_gl0_inv
	s_clause 0x5
	global_load_dwordx4 v[56:59], v[93:94], off offset:672
	global_load_dwordx4 v[52:55], v[93:94], off offset:688
	global_load_dwordx4 v[60:63], v[93:94], off offset:752
	global_load_dwordx4 v[72:75], v[93:94], off offset:736
	global_load_dwordx4 v[68:71], v[93:94], off offset:704
	global_load_dwordx4 v[64:67], v[93:94], off offset:720
	ds_read_b128 v[85:88], v80 offset:784
	ds_read_b128 v[89:92], v80 offset:1568
	;; [unrolled: 1-line block ×6, first 2 shown]
	ds_read_b128 v[109:112], v80
	s_waitcnt vmcnt(5) lgkmcnt(6)
	v_mul_f64 v[113:114], v[87:88], v[58:59]
	v_mul_f64 v[115:116], v[85:86], v[58:59]
	s_waitcnt vmcnt(4) lgkmcnt(5)
	v_mul_f64 v[117:118], v[91:92], v[54:55]
	v_mul_f64 v[119:120], v[89:90], v[54:55]
	;; [unrolled: 3-line block ×6, first 2 shown]
	v_fma_f64 v[85:86], v[85:86], v[56:57], -v[113:114]
	v_fma_f64 v[87:88], v[87:88], v[56:57], v[115:116]
	v_fma_f64 v[89:90], v[89:90], v[52:53], -v[117:118]
	v_fma_f64 v[91:92], v[91:92], v[52:53], v[119:120]
	;; [unrolled: 2-line block ×6, first 2 shown]
	v_add_f64 v[113:114], v[85:86], v[93:94]
	v_add_f64 v[115:116], v[87:88], v[95:96]
	;; [unrolled: 1-line block ×4, first 2 shown]
	v_add_f64 v[89:90], v[89:90], -v[97:98]
	v_add_f64 v[91:92], v[91:92], -v[99:100]
	v_add_f64 v[97:98], v[101:102], v[105:106]
	v_add_f64 v[101:102], v[105:106], -v[101:102]
	v_add_f64 v[99:100], v[107:108], -v[103:104]
	v_add_f64 v[103:104], v[103:104], v[107:108]
	;; [unrolled: 3-line block ×3, first 2 shown]
	v_add_f64 v[107:108], v[119:120], v[115:116]
	v_add_f64 v[85:86], v[113:114], -v[97:98]
	v_add_f64 v[87:88], v[101:102], -v[89:90]
	;; [unrolled: 1-line block ×6, first 2 shown]
	v_add_f64 v[89:90], v[101:102], v[89:90]
	v_add_f64 v[91:92], v[99:100], v[91:92]
	v_add_f64 v[113:114], v[117:118], -v[113:114]
	v_add_f64 v[101:102], v[93:94], -v[101:102]
	;; [unrolled: 1-line block ×4, first 2 shown]
	v_add_f64 v[105:106], v[97:98], v[105:106]
	v_add_f64 v[107:108], v[103:104], v[107:108]
	v_add_f64 v[97:98], v[97:98], -v[117:118]
	v_add_f64 v[103:104], v[103:104], -v[119:120]
	v_mul_f64 v[117:118], v[85:86], s[8:9]
	v_mul_f64 v[129:130], v[87:88], s[14:15]
	;; [unrolled: 1-line block ×6, first 2 shown]
	v_add_f64 v[89:90], v[89:90], v[93:94]
	v_add_f64 v[91:92], v[91:92], v[95:96]
	s_mov_b32 s15, 0x3fe11646
	s_waitcnt lgkmcnt(0)
	v_add_f64 v[85:86], v[109:110], v[105:106]
	v_add_f64 v[87:88], v[111:112], v[107:108]
	v_mul_f64 v[109:110], v[97:98], s[6:7]
	v_mul_f64 v[111:112], v[103:104], s[6:7]
	v_fma_f64 v[93:94], v[97:98], s[6:7], v[117:118]
	v_fma_f64 v[95:96], v[125:126], s[24:25], -v[129:130]
	v_fma_f64 v[97:98], v[101:102], s[22:23], v[129:130]
	v_fma_f64 v[125:126], v[99:100], s[22:23], v[121:122]
	v_fma_f64 v[121:122], v[127:128], s[24:25], -v[121:122]
	v_fma_f64 v[103:104], v[103:104], s[6:7], v[119:120]
	v_fma_f64 v[101:102], v[101:102], s[26:27], v[123:124]
	;; [unrolled: 1-line block ×5, first 2 shown]
	v_fma_f64 v[109:110], v[113:114], s[18:19], -v[109:110]
	v_fma_f64 v[111:112], v[115:116], s[18:19], -v[111:112]
	;; [unrolled: 1-line block ×4, first 2 shown]
	v_fma_f64 v[117:118], v[89:90], s[28:29], v[97:98]
	v_fma_f64 v[119:120], v[91:92], s[28:29], v[125:126]
	;; [unrolled: 1-line block ×5, first 2 shown]
	v_add_f64 v[121:122], v[93:94], v[105:106]
	v_add_f64 v[125:126], v[103:104], v[107:108]
	;; [unrolled: 1-line block ×4, first 2 shown]
	v_fma_f64 v[111:112], v[89:90], s[28:29], v[101:102]
	v_add_f64 v[105:106], v[113:114], v[105:106]
	v_add_f64 v[107:108], v[115:116], v[107:108]
	v_add_co_u32 v113, vcc_lo, 0x1570, v81
	v_add_co_ci_u32_e32 v114, vcc_lo, 0, v82, vcc_lo
	s_mov_b32 s29, 0xbfdc38aa
	v_add_f64 v[89:90], v[119:120], v[121:122]
	v_add_f64 v[91:92], v[125:126], -v[117:118]
	v_add_f64 v[93:94], v[103:104], -v[97:98]
	v_add_f64 v[97:98], v[97:98], v[103:104]
	v_add_f64 v[95:96], v[123:124], v[109:110]
	;; [unrolled: 1-line block ×3, first 2 shown]
	v_add_f64 v[103:104], v[107:108], -v[111:112]
	v_add_f64 v[99:100], v[109:110], -v[123:124]
	;; [unrolled: 1-line block ×3, first 2 shown]
	v_add_f64 v[107:108], v[111:112], v[107:108]
	v_add_f64 v[109:110], v[121:122], -v[119:120]
	v_add_f64 v[111:112], v[117:118], v[125:126]
	ds_write_b128 v80, v[85:88]
	ds_write_b128 v80, v[89:92] offset:784
	ds_write_b128 v80, v[101:104] offset:1568
	ds_write_b128 v80, v[93:96] offset:2352
	ds_write_b128 v80, v[97:100] offset:3136
	ds_write_b128 v80, v[105:108] offset:3920
	ds_write_b128 v80, v[109:112] offset:4704
	s_waitcnt lgkmcnt(0)
	s_barrier
	buffer_gl0_inv
	s_clause 0x2
	global_load_dwordx4 v[85:88], v[77:78], off offset:1392
	global_load_dwordx4 v[89:92], v[113:114], off offset:784
	;; [unrolled: 1-line block ×3, first 2 shown]
	v_add_co_u32 v77, vcc_lo, 0x1800, v81
	v_add_co_ci_u32_e32 v78, vcc_lo, 0, v82, vcc_lo
	global_load_dwordx4 v[97:100], v[77:78], off offset:1696
	v_add_co_u32 v77, vcc_lo, 0x2000, v81
	v_add_co_ci_u32_e32 v78, vcc_lo, 0, v82, vcc_lo
	s_clause 0x2
	global_load_dwordx4 v[101:104], v[77:78], off offset:432
	global_load_dwordx4 v[105:108], v[77:78], off offset:1216
	;; [unrolled: 1-line block ×3, first 2 shown]
	ds_read_b128 v[113:116], v80
	ds_read_b128 v[117:120], v80 offset:784
	ds_read_b128 v[121:124], v80 offset:1568
	;; [unrolled: 1-line block ×3, first 2 shown]
	s_waitcnt vmcnt(6) lgkmcnt(3)
	v_mul_f64 v[77:78], v[115:116], v[87:88]
	v_mul_f64 v[81:82], v[113:114], v[87:88]
	s_waitcnt vmcnt(5) lgkmcnt(2)
	v_mul_f64 v[133:134], v[119:120], v[91:92]
	v_mul_f64 v[91:92], v[117:118], v[91:92]
	;; [unrolled: 3-line block ×3, first 2 shown]
	v_fma_f64 v[113:114], v[113:114], v[85:86], -v[77:78]
	v_fma_f64 v[115:116], v[115:116], v[85:86], v[81:82]
	s_waitcnt vmcnt(3) lgkmcnt(0)
	v_mul_f64 v[77:78], v[127:128], v[99:100]
	v_mul_f64 v[81:82], v[125:126], v[99:100]
	ds_read_b128 v[85:88], v80 offset:3136
	ds_read_b128 v[129:132], v80 offset:3920
	v_fma_f64 v[117:118], v[117:118], v[89:90], -v[133:134]
	v_fma_f64 v[119:120], v[119:120], v[89:90], v[91:92]
	ds_read_b128 v[89:92], v80 offset:4704
	v_fma_f64 v[121:122], v[121:122], v[93:94], -v[135:136]
	v_fma_f64 v[123:124], v[123:124], v[93:94], v[95:96]
	s_waitcnt vmcnt(2) lgkmcnt(2)
	v_mul_f64 v[99:100], v[87:88], v[103:104]
	v_mul_f64 v[103:104], v[85:86], v[103:104]
	s_waitcnt vmcnt(1) lgkmcnt(1)
	v_mul_f64 v[133:134], v[131:132], v[107:108]
	v_mul_f64 v[107:108], v[129:130], v[107:108]
	v_fma_f64 v[93:94], v[125:126], v[97:98], -v[77:78]
	v_fma_f64 v[95:96], v[127:128], v[97:98], v[81:82]
	s_waitcnt vmcnt(0) lgkmcnt(0)
	v_mul_f64 v[77:78], v[91:92], v[111:112]
	v_mul_f64 v[81:82], v[89:90], v[111:112]
	v_fma_f64 v[85:86], v[85:86], v[101:102], -v[99:100]
	v_fma_f64 v[87:88], v[87:88], v[101:102], v[103:104]
	v_fma_f64 v[97:98], v[129:130], v[105:106], -v[133:134]
	v_fma_f64 v[99:100], v[131:132], v[105:106], v[107:108]
	;; [unrolled: 2-line block ×3, first 2 shown]
	ds_write_b128 v80, v[113:116]
	ds_write_b128 v80, v[117:120] offset:784
	ds_write_b128 v80, v[121:124] offset:1568
	ds_write_b128 v80, v[93:96] offset:2352
	ds_write_b128 v80, v[85:88] offset:3136
	ds_write_b128 v80, v[97:100] offset:3920
	ds_write_b128 v80, v[89:92] offset:4704
	s_waitcnt lgkmcnt(0)
	s_barrier
	buffer_gl0_inv
	ds_read_b128 v[85:88], v80 offset:784
	ds_read_b128 v[89:92], v80 offset:4704
	;; [unrolled: 1-line block ×6, first 2 shown]
	ds_read_b128 v[109:112], v80
	s_waitcnt lgkmcnt(0)
	s_barrier
	buffer_gl0_inv
	v_add_f64 v[77:78], v[85:86], v[89:90]
	v_add_f64 v[81:82], v[87:88], v[91:92]
	;; [unrolled: 1-line block ×4, first 2 shown]
	v_add_f64 v[93:94], v[93:94], -v[97:98]
	v_add_f64 v[97:98], v[101:102], -v[105:106]
	;; [unrolled: 1-line block ×5, first 2 shown]
	v_add_f64 v[99:100], v[105:106], v[101:102]
	v_add_f64 v[101:102], v[107:108], v[103:104]
	v_add_f64 v[91:92], v[87:88], -v[91:92]
	v_add_f64 v[87:88], v[113:114], v[77:78]
	v_add_f64 v[103:104], v[115:116], v[81:82]
	v_add_f64 v[105:106], v[97:98], -v[93:94]
	v_add_f64 v[107:108], v[93:94], -v[89:90]
	;; [unrolled: 1-line block ×6, first 2 shown]
	v_add_f64 v[93:94], v[97:98], v[93:94]
	v_add_f64 v[95:96], v[85:86], v[95:96]
	v_add_f64 v[97:98], v[89:90], -v[97:98]
	v_add_f64 v[127:128], v[91:92], -v[85:86]
	;; [unrolled: 1-line block ×4, first 2 shown]
	v_add_f64 v[125:126], v[99:100], v[87:88]
	v_add_f64 v[103:104], v[101:102], v[103:104]
	v_add_f64 v[99:100], v[99:100], -v[113:114]
	v_add_f64 v[101:102], v[101:102], -v[115:116]
	v_mul_f64 v[105:106], v[105:106], s[14:15]
	v_mul_f64 v[129:130], v[107:108], s[24:25]
	;; [unrolled: 1-line block ×6, first 2 shown]
	v_add_f64 v[89:90], v[93:94], v[89:90]
	v_add_f64 v[91:92], v[95:96], v[91:92]
	;; [unrolled: 1-line block ×4, first 2 shown]
	v_mul_f64 v[109:110], v[99:100], s[6:7]
	v_mul_f64 v[111:112], v[101:102], s[6:7]
	v_fma_f64 v[93:94], v[107:108], s[12:13], -v[105:106]
	v_fma_f64 v[95:96], v[97:98], s[26:27], v[105:106]
	v_fma_f64 v[105:106], v[127:128], s[26:27], v[117:118]
	;; [unrolled: 1-line block ×5, first 2 shown]
	v_fma_f64 v[107:108], v[123:124], s[12:13], -v[117:118]
	v_fma_f64 v[113:114], v[127:128], s[22:23], v[131:132]
	v_fma_f64 v[117:118], v[77:78], s[20:21], -v[119:120]
	v_fma_f64 v[119:120], v[81:82], s[20:21], -v[121:122]
	v_fma_f64 v[115:116], v[125:126], s[16:17], v[85:86]
	v_fma_f64 v[103:104], v[103:104], s[16:17], v[87:88]
	v_fma_f64 v[77:78], v[77:78], s[18:19], -v[109:110]
	v_fma_f64 v[81:82], v[81:82], s[18:19], -v[111:112]
	v_fma_f64 v[111:112], v[89:90], s[28:29], v[95:96]
	v_fma_f64 v[109:110], v[91:92], s[28:29], v[105:106]
	;; [unrolled: 1-line block ×6, first 2 shown]
	v_add_f64 v[123:124], v[99:100], v[115:116]
	v_add_f64 v[125:126], v[101:102], v[103:104]
	;; [unrolled: 1-line block ×7, first 2 shown]
	v_add_f64 v[91:92], v[125:126], -v[111:112]
	v_add_f64 v[93:94], v[117:118], v[113:114]
	v_add_f64 v[95:96], v[119:120], -v[121:122]
	v_add_f64 v[97:98], v[77:78], -v[107:108]
	v_add_f64 v[99:100], v[105:106], v[81:82]
	v_add_f64 v[101:102], v[77:78], v[107:108]
	v_add_f64 v[103:104], v[81:82], -v[105:106]
	v_add_f64 v[105:106], v[117:118], -v[113:114]
	v_add_f64 v[107:108], v[121:122], v[119:120]
	v_add_f64 v[109:110], v[123:124], -v[109:110]
	v_add_f64 v[111:112], v[111:112], v[125:126]
	ds_write_b128 v84, v[85:88]
	ds_write_b128 v84, v[89:92] offset:16
	ds_write_b128 v84, v[93:96] offset:32
	;; [unrolled: 1-line block ×6, first 2 shown]
	s_waitcnt lgkmcnt(0)
	s_barrier
	buffer_gl0_inv
	ds_read_b128 v[84:87], v80 offset:784
	ds_read_b128 v[88:91], v80 offset:1568
	;; [unrolled: 1-line block ×6, first 2 shown]
	ds_read_b128 v[108:111], v80
	s_waitcnt lgkmcnt(0)
	s_barrier
	buffer_gl0_inv
	v_mul_f64 v[77:78], v[34:35], v[86:87]
	v_mul_f64 v[34:35], v[34:35], v[84:85]
	;; [unrolled: 1-line block ×12, first 2 shown]
	v_fma_f64 v[77:78], v[32:33], v[84:85], v[77:78]
	v_fma_f64 v[32:33], v[32:33], v[86:87], -v[34:35]
	v_fma_f64 v[34:35], v[28:29], v[88:89], v[81:82]
	v_fma_f64 v[28:29], v[28:29], v[90:91], -v[30:31]
	;; [unrolled: 2-line block ×6, first 2 shown]
	v_add_f64 v[42:43], v[77:78], v[30:31]
	v_add_f64 v[81:82], v[32:33], v[36:37]
	;; [unrolled: 1-line block ×4, first 2 shown]
	v_add_f64 v[34:35], v[34:35], -v[38:39]
	v_add_f64 v[28:29], v[28:29], -v[48:49]
	v_add_f64 v[38:39], v[50:51], v[46:47]
	v_add_f64 v[48:49], v[44:45], v[40:41]
	v_add_f64 v[46:47], v[46:47], -v[50:51]
	v_add_f64 v[40:41], v[40:41], -v[44:45]
	;; [unrolled: 1-line block ×4, first 2 shown]
	v_add_f64 v[30:31], v[84:85], v[42:43]
	v_add_f64 v[36:37], v[86:87], v[81:82]
	v_add_f64 v[50:51], v[42:43], -v[38:39]
	v_add_f64 v[77:78], v[81:82], -v[48:49]
	;; [unrolled: 1-line block ×6, first 2 shown]
	v_add_f64 v[34:35], v[46:47], v[34:35]
	v_add_f64 v[98:99], v[40:41], v[28:29]
	v_add_f64 v[46:47], v[44:45], -v[46:47]
	v_add_f64 v[40:41], v[32:33], -v[40:41]
	;; [unrolled: 1-line block ×4, first 2 shown]
	v_add_f64 v[96:97], v[38:39], v[30:31]
	v_add_f64 v[36:37], v[48:49], v[36:37]
	v_add_f64 v[38:39], v[38:39], -v[84:85]
	v_add_f64 v[48:49], v[48:49], -v[86:87]
	v_mul_f64 v[50:51], v[50:51], s[8:9]
	v_mul_f64 v[77:78], v[77:78], s[8:9]
	;; [unrolled: 1-line block ×6, first 2 shown]
	v_add_f64 v[34:35], v[34:35], v[44:45]
	v_add_f64 v[32:33], v[98:99], v[32:33]
	;; [unrolled: 1-line block ×4, first 2 shown]
	v_mul_f64 v[84:85], v[38:39], s[6:7]
	v_mul_f64 v[86:87], v[48:49], s[6:7]
	v_fma_f64 v[38:39], v[38:39], s[6:7], v[50:51]
	v_fma_f64 v[44:45], v[48:49], s[6:7], v[77:78]
	;; [unrolled: 1-line block ×4, first 2 shown]
	v_fma_f64 v[88:89], v[92:93], s[12:13], -v[88:89]
	v_fma_f64 v[90:91], v[94:95], s[12:13], -v[90:91]
	v_fma_f64 v[46:47], v[46:47], s[22:23], v[100:101]
	v_fma_f64 v[40:41], v[40:41], s[22:23], v[102:103]
	v_fma_f64 v[50:51], v[42:43], s[20:21], -v[50:51]
	v_fma_f64 v[77:78], v[81:82], s[20:21], -v[77:78]
	v_fma_f64 v[92:93], v[96:97], s[16:17], v[28:29]
	v_fma_f64 v[36:37], v[36:37], s[16:17], v[30:31]
	;; [unrolled: 4-line block ×3, first 2 shown]
	v_fma_f64 v[48:49], v[34:35], s[28:29], v[88:89]
	v_fma_f64 v[88:89], v[32:33], s[28:29], v[90:91]
	;; [unrolled: 1-line block ×4, first 2 shown]
	v_add_f64 v[96:97], v[38:39], v[92:93]
	v_add_f64 v[98:99], v[44:45], v[36:37]
	;; [unrolled: 1-line block ×7, first 2 shown]
	v_add_f64 v[34:35], v[98:99], -v[86:87]
	v_add_f64 v[36:37], v[94:95], v[50:51]
	v_add_f64 v[38:39], v[77:78], -v[90:91]
	v_add_f64 v[40:41], v[44:45], -v[88:89]
	v_add_f64 v[42:43], v[48:49], v[46:47]
	v_add_f64 v[44:45], v[88:89], v[44:45]
	v_add_f64 v[46:47], v[46:47], -v[48:49]
	v_add_f64 v[48:49], v[50:51], -v[94:95]
	v_add_f64 v[50:51], v[90:91], v[77:78]
	v_add_f64 v[84:85], v[96:97], -v[84:85]
	v_add_f64 v[86:87], v[86:87], v[98:99]
	ds_write_b128 v83, v[28:31]
	ds_write_b128 v83, v[32:35] offset:112
	ds_write_b128 v83, v[36:39] offset:224
	;; [unrolled: 1-line block ×6, first 2 shown]
	s_waitcnt lgkmcnt(0)
	s_barrier
	buffer_gl0_inv
	ds_read_b128 v[28:31], v80 offset:784
	ds_read_b128 v[32:35], v80 offset:1568
	;; [unrolled: 1-line block ×6, first 2 shown]
	ds_read_b128 v[81:84], v80
	s_waitcnt lgkmcnt(6)
	v_mul_f64 v[77:78], v[58:59], v[30:31]
	v_mul_f64 v[58:59], v[58:59], v[28:29]
	s_waitcnt lgkmcnt(5)
	v_mul_f64 v[85:86], v[54:55], v[34:35]
	v_mul_f64 v[54:55], v[54:55], v[32:33]
	;; [unrolled: 3-line block ×6, first 2 shown]
	v_fma_f64 v[28:29], v[56:57], v[28:29], v[77:78]
	v_fma_f64 v[30:31], v[56:57], v[30:31], -v[58:59]
	v_fma_f64 v[32:33], v[52:53], v[32:33], v[85:86]
	v_fma_f64 v[34:35], v[52:53], v[34:35], -v[54:55]
	v_fma_f64 v[36:37], v[60:61], v[36:37], v[87:88]
	v_fma_f64 v[38:39], v[60:61], v[38:39], -v[62:63]
	v_fma_f64 v[40:41], v[72:73], v[40:41], v[89:90]
	v_fma_f64 v[42:43], v[72:73], v[42:43], -v[74:75]
	v_fma_f64 v[44:45], v[68:69], v[44:45], v[91:92]
	v_fma_f64 v[46:47], v[68:69], v[46:47], -v[70:71]
	v_fma_f64 v[48:49], v[64:65], v[48:49], v[93:94]
	v_fma_f64 v[50:51], v[64:65], v[50:51], -v[66:67]
	v_add_f64 v[52:53], v[28:29], v[36:37]
	v_add_f64 v[54:55], v[30:31], v[38:39]
	;; [unrolled: 1-line block ×4, first 2 shown]
	v_add_f64 v[32:33], v[32:33], -v[40:41]
	v_add_f64 v[34:35], v[34:35], -v[42:43]
	v_add_f64 v[40:41], v[44:45], v[48:49]
	v_add_f64 v[42:43], v[46:47], v[50:51]
	v_add_f64 v[44:45], v[48:49], -v[44:45]
	v_add_f64 v[46:47], v[50:51], -v[46:47]
	;; [unrolled: 1-line block ×4, first 2 shown]
	v_add_f64 v[28:29], v[56:57], v[52:53]
	v_add_f64 v[30:31], v[58:59], v[54:55]
	v_add_f64 v[48:49], v[52:53], -v[40:41]
	v_add_f64 v[50:51], v[54:55], -v[42:43]
	;; [unrolled: 1-line block ×6, first 2 shown]
	v_add_f64 v[32:33], v[44:45], v[32:33]
	v_add_f64 v[34:35], v[46:47], v[34:35]
	v_add_f64 v[44:45], v[36:37], -v[44:45]
	v_add_f64 v[46:47], v[38:39], -v[46:47]
	;; [unrolled: 1-line block ×4, first 2 shown]
	v_add_f64 v[68:69], v[40:41], v[28:29]
	v_add_f64 v[70:71], v[42:43], v[30:31]
	v_add_f64 v[40:41], v[40:41], -v[56:57]
	v_add_f64 v[42:43], v[42:43], -v[58:59]
	v_mul_f64 v[48:49], v[48:49], s[8:9]
	v_mul_f64 v[50:51], v[50:51], s[8:9]
	;; [unrolled: 1-line block ×6, first 2 shown]
	v_add_f64 v[32:33], v[32:33], v[36:37]
	v_add_f64 v[34:35], v[34:35], v[38:39]
	s_waitcnt lgkmcnt(0)
	v_add_f64 v[28:29], v[81:82], v[68:69]
	v_add_f64 v[30:31], v[83:84], v[70:71]
	v_mul_f64 v[56:57], v[40:41], s[6:7]
	v_mul_f64 v[58:59], v[42:43], s[6:7]
	v_fma_f64 v[36:37], v[40:41], s[6:7], v[48:49]
	v_fma_f64 v[38:39], v[42:43], s[6:7], v[50:51]
	;; [unrolled: 1-line block ×4, first 2 shown]
	v_fma_f64 v[60:61], v[64:65], s[12:13], -v[60:61]
	v_fma_f64 v[62:63], v[66:67], s[12:13], -v[62:63]
	v_fma_f64 v[44:45], v[44:45], s[22:23], v[72:73]
	v_fma_f64 v[46:47], v[46:47], s[22:23], v[74:75]
	v_fma_f64 v[48:49], v[52:53], s[20:21], -v[48:49]
	v_fma_f64 v[50:51], v[54:55], s[20:21], -v[50:51]
	v_fma_f64 v[64:65], v[68:69], s[16:17], v[28:29]
	v_fma_f64 v[66:67], v[70:71], s[16:17], v[30:31]
	;; [unrolled: 4-line block ×3, first 2 shown]
	v_fma_f64 v[60:61], v[32:33], s[28:29], v[60:61]
	v_fma_f64 v[62:63], v[34:35], s[28:29], v[62:63]
	;; [unrolled: 1-line block ×4, first 2 shown]
	v_add_f64 v[72:73], v[36:37], v[64:65]
	v_add_f64 v[74:75], v[38:39], v[66:67]
	;; [unrolled: 1-line block ×7, first 2 shown]
	v_add_f64 v[34:35], v[74:75], -v[56:57]
	v_add_f64 v[36:37], v[70:71], v[48:49]
	v_add_f64 v[38:39], v[50:51], -v[68:69]
	v_add_f64 v[40:41], v[44:45], -v[62:63]
	v_add_f64 v[42:43], v[60:61], v[46:47]
	v_add_f64 v[44:45], v[62:63], v[44:45]
	v_add_f64 v[46:47], v[46:47], -v[60:61]
	v_add_f64 v[48:49], v[48:49], -v[70:71]
	v_add_f64 v[50:51], v[68:69], v[50:51]
	v_add_f64 v[52:53], v[72:73], -v[58:59]
	v_add_f64 v[54:55], v[56:57], v[74:75]
	v_mad_u64_u32 v[56:57], null, s2, v76, 0
	v_mad_u64_u32 v[58:59], null, s0, v79, 0
	ds_write_b128 v80, v[28:31]
	ds_write_b128 v80, v[32:35] offset:784
	ds_write_b128 v80, v[36:39] offset:1568
	;; [unrolled: 1-line block ×6, first 2 shown]
	s_waitcnt lgkmcnt(0)
	s_barrier
	buffer_gl0_inv
	ds_read_b128 v[28:31], v80
	ds_read_b128 v[32:35], v80 offset:784
	ds_read_b128 v[36:39], v80 offset:1568
	v_mad_u64_u32 v[60:61], null, s3, v76, v[57:58]
	ds_read_b128 v[40:43], v80 offset:2352
	ds_read_b128 v[44:47], v80 offset:3136
	;; [unrolled: 1-line block ×4, first 2 shown]
	s_load_dwordx2 s[2:3], s[4:5], 0x38
	s_mul_hi_u32 s4, s0, 0x310
	s_mul_i32 s5, s0, 0x310
	v_mad_u64_u32 v[61:62], null, s1, v79, v[59:60]
	v_mov_b32_e32 v57, v60
	s_mulk_i32 s1, 0x310
	s_add_i32 s4, s4, s1
	s_mov_b32 s0, 0x515a4f1d
	v_lshlrev_b64 v[56:57], 4, v[56:57]
	v_mov_b32_e32 v59, v61
	s_mov_b32 s1, 0x3f67e225
	s_waitcnt lgkmcnt(0)
	v_mul_f64 v[60:61], v[2:3], v[30:31]
	v_mul_f64 v[2:3], v[2:3], v[28:29]
	;; [unrolled: 1-line block ×14, first 2 shown]
	v_lshlrev_b64 v[58:59], 4, v[58:59]
	v_add_co_u32 v56, vcc_lo, s2, v56
	v_add_co_ci_u32_e32 v57, vcc_lo, s3, v57, vcc_lo
	v_add_co_u32 v56, vcc_lo, v56, v58
	v_fma_f64 v[28:29], v[0:1], v[28:29], v[60:61]
	v_fma_f64 v[2:3], v[0:1], v[30:31], -v[2:3]
	v_fma_f64 v[30:31], v[4:5], v[32:33], v[62:63]
	v_fma_f64 v[6:7], v[4:5], v[34:35], -v[6:7]
	;; [unrolled: 2-line block ×7, first 2 shown]
	v_add_co_ci_u32_e32 v57, vcc_lo, v57, v59, vcc_lo
	v_add_co_u32 v42, vcc_lo, v56, s5
	v_add_co_ci_u32_e32 v43, vcc_lo, s4, v57, vcc_lo
	v_add_co_u32 v44, vcc_lo, v42, s5
	v_mul_f64 v[0:1], v[28:29], s[0:1]
	v_mul_f64 v[2:3], v[2:3], s[0:1]
	;; [unrolled: 1-line block ×4, first 2 shown]
	v_add_co_ci_u32_e32 v45, vcc_lo, s4, v43, vcc_lo
	v_mul_f64 v[8:9], v[32:33], s[0:1]
	v_mul_f64 v[10:11], v[10:11], s[0:1]
	;; [unrolled: 1-line block ×8, first 2 shown]
	v_add_co_u32 v28, vcc_lo, v44, s5
	v_mul_f64 v[24:25], v[40:41], s[0:1]
	v_mul_f64 v[26:27], v[26:27], s[0:1]
	v_add_co_ci_u32_e32 v29, vcc_lo, s4, v45, vcc_lo
	v_add_co_u32 v30, vcc_lo, v28, s5
	v_add_co_ci_u32_e32 v31, vcc_lo, s4, v29, vcc_lo
	v_add_co_u32 v32, vcc_lo, v30, s5
	v_add_co_ci_u32_e32 v33, vcc_lo, s4, v31, vcc_lo
	v_add_co_u32 v34, vcc_lo, v32, s5
	v_add_co_ci_u32_e32 v35, vcc_lo, s4, v33, vcc_lo
	global_store_dwordx4 v[56:57], v[0:3], off
	global_store_dwordx4 v[42:43], v[4:7], off
	;; [unrolled: 1-line block ×7, first 2 shown]
.LBB0_2:
	s_endpgm
	.section	.rodata,"a",@progbits
	.p2align	6, 0x0
	.amdhsa_kernel bluestein_single_back_len343_dim1_dp_op_CI_CI
		.amdhsa_group_segment_fixed_size 27440
		.amdhsa_private_segment_fixed_size 0
		.amdhsa_kernarg_size 104
		.amdhsa_user_sgpr_count 6
		.amdhsa_user_sgpr_private_segment_buffer 1
		.amdhsa_user_sgpr_dispatch_ptr 0
		.amdhsa_user_sgpr_queue_ptr 0
		.amdhsa_user_sgpr_kernarg_segment_ptr 1
		.amdhsa_user_sgpr_dispatch_id 0
		.amdhsa_user_sgpr_flat_scratch_init 0
		.amdhsa_user_sgpr_private_segment_size 0
		.amdhsa_wavefront_size32 1
		.amdhsa_uses_dynamic_stack 0
		.amdhsa_system_sgpr_private_segment_wavefront_offset 0
		.amdhsa_system_sgpr_workgroup_id_x 1
		.amdhsa_system_sgpr_workgroup_id_y 0
		.amdhsa_system_sgpr_workgroup_id_z 0
		.amdhsa_system_sgpr_workgroup_info 0
		.amdhsa_system_vgpr_workitem_id 0
		.amdhsa_next_free_vgpr 137
		.amdhsa_next_free_sgpr 30
		.amdhsa_reserve_vcc 1
		.amdhsa_reserve_flat_scratch 0
		.amdhsa_float_round_mode_32 0
		.amdhsa_float_round_mode_16_64 0
		.amdhsa_float_denorm_mode_32 3
		.amdhsa_float_denorm_mode_16_64 3
		.amdhsa_dx10_clamp 1
		.amdhsa_ieee_mode 1
		.amdhsa_fp16_overflow 0
		.amdhsa_workgroup_processor_mode 1
		.amdhsa_memory_ordered 1
		.amdhsa_forward_progress 0
		.amdhsa_shared_vgpr_count 0
		.amdhsa_exception_fp_ieee_invalid_op 0
		.amdhsa_exception_fp_denorm_src 0
		.amdhsa_exception_fp_ieee_div_zero 0
		.amdhsa_exception_fp_ieee_overflow 0
		.amdhsa_exception_fp_ieee_underflow 0
		.amdhsa_exception_fp_ieee_inexact 0
		.amdhsa_exception_int_div_zero 0
	.end_amdhsa_kernel
	.text
.Lfunc_end0:
	.size	bluestein_single_back_len343_dim1_dp_op_CI_CI, .Lfunc_end0-bluestein_single_back_len343_dim1_dp_op_CI_CI
                                        ; -- End function
	.section	.AMDGPU.csdata,"",@progbits
; Kernel info:
; codeLenInByte = 7936
; NumSgprs: 32
; NumVgprs: 137
; ScratchSize: 0
; MemoryBound: 0
; FloatMode: 240
; IeeeMode: 1
; LDSByteSize: 27440 bytes/workgroup (compile time only)
; SGPRBlocks: 3
; VGPRBlocks: 17
; NumSGPRsForWavesPerEU: 32
; NumVGPRsForWavesPerEU: 137
; Occupancy: 7
; WaveLimiterHint : 1
; COMPUTE_PGM_RSRC2:SCRATCH_EN: 0
; COMPUTE_PGM_RSRC2:USER_SGPR: 6
; COMPUTE_PGM_RSRC2:TRAP_HANDLER: 0
; COMPUTE_PGM_RSRC2:TGID_X_EN: 1
; COMPUTE_PGM_RSRC2:TGID_Y_EN: 0
; COMPUTE_PGM_RSRC2:TGID_Z_EN: 0
; COMPUTE_PGM_RSRC2:TIDIG_COMP_CNT: 0
	.text
	.p2alignl 6, 3214868480
	.fill 48, 4, 3214868480
	.type	__hip_cuid_b107027ae4e768cd,@object ; @__hip_cuid_b107027ae4e768cd
	.section	.bss,"aw",@nobits
	.globl	__hip_cuid_b107027ae4e768cd
__hip_cuid_b107027ae4e768cd:
	.byte	0                               ; 0x0
	.size	__hip_cuid_b107027ae4e768cd, 1

	.ident	"AMD clang version 19.0.0git (https://github.com/RadeonOpenCompute/llvm-project roc-6.4.0 25133 c7fe45cf4b819c5991fe208aaa96edf142730f1d)"
	.section	".note.GNU-stack","",@progbits
	.addrsig
	.addrsig_sym __hip_cuid_b107027ae4e768cd
	.amdgpu_metadata
---
amdhsa.kernels:
  - .args:
      - .actual_access:  read_only
        .address_space:  global
        .offset:         0
        .size:           8
        .value_kind:     global_buffer
      - .actual_access:  read_only
        .address_space:  global
        .offset:         8
        .size:           8
        .value_kind:     global_buffer
      - .actual_access:  read_only
        .address_space:  global
        .offset:         16
        .size:           8
        .value_kind:     global_buffer
      - .actual_access:  read_only
        .address_space:  global
        .offset:         24
        .size:           8
        .value_kind:     global_buffer
      - .actual_access:  read_only
        .address_space:  global
        .offset:         32
        .size:           8
        .value_kind:     global_buffer
      - .offset:         40
        .size:           8
        .value_kind:     by_value
      - .address_space:  global
        .offset:         48
        .size:           8
        .value_kind:     global_buffer
      - .address_space:  global
        .offset:         56
        .size:           8
        .value_kind:     global_buffer
      - .address_space:  global
        .offset:         64
        .size:           8
        .value_kind:     global_buffer
      - .address_space:  global
        .offset:         72
        .size:           8
        .value_kind:     global_buffer
      - .offset:         80
        .size:           4
        .value_kind:     by_value
      - .address_space:  global
        .offset:         88
        .size:           8
        .value_kind:     global_buffer
      - .address_space:  global
        .offset:         96
        .size:           8
        .value_kind:     global_buffer
    .group_segment_fixed_size: 27440
    .kernarg_segment_align: 8
    .kernarg_segment_size: 104
    .language:       OpenCL C
    .language_version:
      - 2
      - 0
    .max_flat_workgroup_size: 245
    .name:           bluestein_single_back_len343_dim1_dp_op_CI_CI
    .private_segment_fixed_size: 0
    .sgpr_count:     32
    .sgpr_spill_count: 0
    .symbol:         bluestein_single_back_len343_dim1_dp_op_CI_CI.kd
    .uniform_work_group_size: 1
    .uses_dynamic_stack: false
    .vgpr_count:     137
    .vgpr_spill_count: 0
    .wavefront_size: 32
    .workgroup_processor_mode: 1
amdhsa.target:   amdgcn-amd-amdhsa--gfx1030
amdhsa.version:
  - 1
  - 2
...

	.end_amdgpu_metadata
